;; amdgpu-corpus repo=zjin-lcf/HeCBench kind=compiled arch=gfx906 opt=O3
	.amdgcn_target "amdgcn-amd-amdhsa--gfx906"
	.amdhsa_code_object_version 6
	.text
	.protected	_Z13haccmk_kerneliiPKfS0_S0_S0_PfS1_S1_fff ; -- Begin function _Z13haccmk_kerneliiPKfS0_S0_S0_PfS1_S1_fff
	.globl	_Z13haccmk_kerneliiPKfS0_S0_S0_PfS1_S1_fff
	.p2align	8
	.type	_Z13haccmk_kerneliiPKfS0_S0_S0_PfS1_S1_fff,@function
_Z13haccmk_kerneliiPKfS0_S0_S0_PfS1_S1_fff: ; @_Z13haccmk_kerneliiPKfS0_S0_S0_PfS1_S1_fff
; %bb.0:
	s_load_dword s0, s[4:5], 0x5c
	s_load_dwordx2 s[24:25], s[4:5], 0x0
	s_waitcnt lgkmcnt(0)
	s_and_b32 s0, s0, 0xffff
	s_mul_i32 s6, s6, s0
	v_add_u32_e32 v0, s6, v0
	v_cmp_gt_i32_e32 vcc, s24, v0
	s_and_saveexec_b64 s[0:1], vcc
	s_cbranch_execz .LBB0_6
; %bb.1:
	s_load_dwordx4 s[20:23], s[4:5], 0x28
	s_load_dwordx2 s[2:3], s[4:5], 0x38
	s_load_dwordx4 s[16:19], s[4:5], 0x40
	v_ashrrev_i32_e32 v1, 31, v0
	v_lshlrev_b64 v[0:1], 2, v[0:1]
	s_cmp_lt_i32 s25, 1
	s_cbranch_scc1 .LBB0_4
; %bb.2:
	s_load_dwordx8 s[8:15], s[4:5], 0x8
	s_mov_b32 s4, 0xf800000
	v_mov_b32_e32 v8, 0x260
	v_mov_b32_e32 v9, 0xba8f475b
	;; [unrolled: 1-line block ×3, first 2 shown]
	s_waitcnt lgkmcnt(0)
	v_mov_b32_e32 v3, s9
	v_add_co_u32_e32 v2, vcc, s8, v0
	v_addc_co_u32_e32 v3, vcc, v3, v1, vcc
	v_mov_b32_e32 v4, s11
	global_load_dword v5, v[2:3], off
	v_add_co_u32_e32 v2, vcc, s10, v0
	v_addc_co_u32_e32 v3, vcc, v4, v1, vcc
	global_load_dword v6, v[2:3], off
	v_mov_b32_e32 v3, s13
	v_add_co_u32_e32 v2, vcc, s12, v0
	v_addc_co_u32_e32 v3, vcc, v3, v1, vcc
	global_load_dword v7, v[2:3], off
	v_mov_b32_e32 v2, 0
	v_mov_b32_e32 v11, 0xbd99cce0
	;; [unrolled: 1-line block ×5, first 2 shown]
.LBB0_3:                                ; =>This Inner Loop Header: Depth=1
	s_load_dword s0, s[8:9], 0x0
	s_load_dword s1, s[10:11], 0x0
	;; [unrolled: 1-line block ×3, first 2 shown]
	s_add_i32 s25, s25, -1
	s_add_u32 s8, s8, 4
	s_waitcnt vmcnt(2) lgkmcnt(0)
	v_sub_f32_e32 v13, s0, v5
	s_waitcnt vmcnt(1)
	v_sub_f32_e32 v14, s1, v6
	v_mul_f32_e32 v16, v14, v14
	s_waitcnt vmcnt(0)
	v_sub_f32_e32 v15, s5, v7
	v_fmac_f32_e32 v16, v13, v13
	v_fmac_f32_e32 v16, v15, v15
	v_add_f32_e32 v17, s17, v16
	v_mul_f32_e32 v18, 0x4f800000, v17
	v_cmp_gt_f32_e32 vcc, s4, v17
	v_cndmask_b32_e32 v18, v17, v18, vcc
	v_sqrt_f32_e32 v19, v18
	s_addc_u32 s9, s9, 0
	s_add_u32 s10, s10, 4
	s_addc_u32 s11, s11, 0
	v_add_u32_e32 v20, -1, v19
	v_fma_f32 v21, -v20, v19, v18
	v_cmp_ge_f32_e64 s[0:1], 0, v21
	v_add_u32_e32 v21, 1, v19
	v_cndmask_b32_e64 v20, v19, v20, s[0:1]
	v_fma_f32 v19, -v21, v19, v18
	v_cmp_lt_f32_e64 s[0:1], 0, v19
	v_cndmask_b32_e64 v19, v20, v21, s[0:1]
	v_mul_f32_e32 v20, 0x37800000, v19
	v_cndmask_b32_e32 v19, v19, v20, vcc
	v_cmp_class_f32_e32 vcc, v18, v8
	v_cndmask_b32_e32 v18, v19, v18, vcc
	v_mul_f32_e32 v17, v17, v18
	v_div_scale_f32 v18, s[0:1], v17, v17, 1.0
	v_div_scale_f32 v19, vcc, 1.0, v17, 1.0
	s_load_dword s0, s[14:15], 0x0
	s_add_u32 s12, s12, 4
	s_addc_u32 s13, s13, 0
	s_add_u32 s14, s14, 4
	s_addc_u32 s15, s15, 0
	s_cmp_eq_u32 s25, 0
	v_rcp_f32_e32 v20, v18
	v_fma_f32 v21, -v18, v20, 1.0
	v_fmac_f32_e32 v20, v21, v20
	v_mul_f32_e32 v21, v19, v20
	v_fma_f32 v22, -v18, v21, v19
	v_fmac_f32_e32 v21, v22, v20
	v_fma_f32 v18, -v18, v21, v19
	v_div_fmas_f32 v18, v18, v20, v21
	v_mov_b32_e32 v19, 0x387df61a
	v_fmac_f32_e32 v19, 0xb5c589a2, v16
	v_fma_f32 v19, v16, v19, v9
	v_fma_f32 v19, v16, v19, v10
	v_cmp_gt_f32_e32 vcc, s16, v16
	v_fma_f32 v19, v16, v19, v11
	v_cndmask_b32_e64 v20, 0, 1.0, vcc
	v_fma_f32 v16, v16, v19, v12
	s_waitcnt lgkmcnt(0)
	v_mul_f32_e32 v20, s0, v20
	v_div_fixup_f32 v17, v18, v17, 1.0
	v_sub_f32_e32 v16, v17, v16
	v_mul_f32_e32 v16, v20, v16
	v_fmac_f32_e32 v2, v13, v16
	v_fmac_f32_e32 v3, v14, v16
	;; [unrolled: 1-line block ×3, first 2 shown]
	s_cbranch_scc0 .LBB0_3
	s_branch .LBB0_5
.LBB0_4:
	v_mov_b32_e32 v2, 0
	v_mov_b32_e32 v3, 0
	;; [unrolled: 1-line block ×3, first 2 shown]
.LBB0_5:
	s_waitcnt lgkmcnt(0)
	v_mov_b32_e32 v6, s21
	v_add_co_u32_e32 v5, vcc, s20, v0
	v_addc_co_u32_e32 v6, vcc, v6, v1, vcc
	v_mov_b32_e32 v8, s23
	v_add_co_u32_e32 v7, vcc, s22, v0
	v_addc_co_u32_e32 v8, vcc, v8, v1, vcc
	v_mov_b32_e32 v11, s3
	v_add_co_u32_e32 v0, vcc, s2, v0
	global_load_dword v9, v[5:6], off
	v_addc_co_u32_e32 v1, vcc, v11, v1, vcc
	global_load_dword v10, v[7:8], off
	global_load_dword v11, v[0:1], off
	s_waitcnt vmcnt(2)
	v_fmac_f32_e32 v9, s18, v2
	s_waitcnt vmcnt(1)
	v_fmac_f32_e32 v10, s18, v3
	;; [unrolled: 2-line block ×3, first 2 shown]
	global_store_dword v[5:6], v9, off
	global_store_dword v[7:8], v10, off
	;; [unrolled: 1-line block ×3, first 2 shown]
.LBB0_6:
	s_endpgm
	.section	.rodata,"a",@progbits
	.p2align	6, 0x0
	.amdhsa_kernel _Z13haccmk_kerneliiPKfS0_S0_S0_PfS1_S1_fff
		.amdhsa_group_segment_fixed_size 0
		.amdhsa_private_segment_fixed_size 0
		.amdhsa_kernarg_size 336
		.amdhsa_user_sgpr_count 6
		.amdhsa_user_sgpr_private_segment_buffer 1
		.amdhsa_user_sgpr_dispatch_ptr 0
		.amdhsa_user_sgpr_queue_ptr 0
		.amdhsa_user_sgpr_kernarg_segment_ptr 1
		.amdhsa_user_sgpr_dispatch_id 0
		.amdhsa_user_sgpr_flat_scratch_init 0
		.amdhsa_user_sgpr_private_segment_size 0
		.amdhsa_uses_dynamic_stack 0
		.amdhsa_system_sgpr_private_segment_wavefront_offset 0
		.amdhsa_system_sgpr_workgroup_id_x 1
		.amdhsa_system_sgpr_workgroup_id_y 0
		.amdhsa_system_sgpr_workgroup_id_z 0
		.amdhsa_system_sgpr_workgroup_info 0
		.amdhsa_system_vgpr_workitem_id 0
		.amdhsa_next_free_vgpr 23
		.amdhsa_next_free_sgpr 26
		.amdhsa_reserve_vcc 1
		.amdhsa_reserve_flat_scratch 0
		.amdhsa_float_round_mode_32 0
		.amdhsa_float_round_mode_16_64 0
		.amdhsa_float_denorm_mode_32 3
		.amdhsa_float_denorm_mode_16_64 3
		.amdhsa_dx10_clamp 1
		.amdhsa_ieee_mode 1
		.amdhsa_fp16_overflow 0
		.amdhsa_exception_fp_ieee_invalid_op 0
		.amdhsa_exception_fp_denorm_src 0
		.amdhsa_exception_fp_ieee_div_zero 0
		.amdhsa_exception_fp_ieee_overflow 0
		.amdhsa_exception_fp_ieee_underflow 0
		.amdhsa_exception_fp_ieee_inexact 0
		.amdhsa_exception_int_div_zero 0
	.end_amdhsa_kernel
	.text
.Lfunc_end0:
	.size	_Z13haccmk_kerneliiPKfS0_S0_S0_PfS1_S1_fff, .Lfunc_end0-_Z13haccmk_kerneliiPKfS0_S0_S0_PfS1_S1_fff
                                        ; -- End function
	.set _Z13haccmk_kerneliiPKfS0_S0_S0_PfS1_S1_fff.num_vgpr, 23
	.set _Z13haccmk_kerneliiPKfS0_S0_S0_PfS1_S1_fff.num_agpr, 0
	.set _Z13haccmk_kerneliiPKfS0_S0_S0_PfS1_S1_fff.numbered_sgpr, 26
	.set _Z13haccmk_kerneliiPKfS0_S0_S0_PfS1_S1_fff.num_named_barrier, 0
	.set _Z13haccmk_kerneliiPKfS0_S0_S0_PfS1_S1_fff.private_seg_size, 0
	.set _Z13haccmk_kerneliiPKfS0_S0_S0_PfS1_S1_fff.uses_vcc, 1
	.set _Z13haccmk_kerneliiPKfS0_S0_S0_PfS1_S1_fff.uses_flat_scratch, 0
	.set _Z13haccmk_kerneliiPKfS0_S0_S0_PfS1_S1_fff.has_dyn_sized_stack, 0
	.set _Z13haccmk_kerneliiPKfS0_S0_S0_PfS1_S1_fff.has_recursion, 0
	.set _Z13haccmk_kerneliiPKfS0_S0_S0_PfS1_S1_fff.has_indirect_call, 0
	.section	.AMDGPU.csdata,"",@progbits
; Kernel info:
; codeLenInByte = 732
; TotalNumSgprs: 30
; NumVgprs: 23
; ScratchSize: 0
; MemoryBound: 0
; FloatMode: 240
; IeeeMode: 1
; LDSByteSize: 0 bytes/workgroup (compile time only)
; SGPRBlocks: 3
; VGPRBlocks: 5
; NumSGPRsForWavesPerEU: 30
; NumVGPRsForWavesPerEU: 23
; Occupancy: 10
; WaveLimiterHint : 0
; COMPUTE_PGM_RSRC2:SCRATCH_EN: 0
; COMPUTE_PGM_RSRC2:USER_SGPR: 6
; COMPUTE_PGM_RSRC2:TRAP_HANDLER: 0
; COMPUTE_PGM_RSRC2:TGID_X_EN: 1
; COMPUTE_PGM_RSRC2:TGID_Y_EN: 0
; COMPUTE_PGM_RSRC2:TGID_Z_EN: 0
; COMPUTE_PGM_RSRC2:TIDIG_COMP_CNT: 0
	.section	.AMDGPU.gpr_maximums,"",@progbits
	.set amdgpu.max_num_vgpr, 0
	.set amdgpu.max_num_agpr, 0
	.set amdgpu.max_num_sgpr, 0
	.section	.AMDGPU.csdata,"",@progbits
	.type	__hip_cuid_b7ba18e62918843e,@object ; @__hip_cuid_b7ba18e62918843e
	.section	.bss,"aw",@nobits
	.globl	__hip_cuid_b7ba18e62918843e
__hip_cuid_b7ba18e62918843e:
	.byte	0                               ; 0x0
	.size	__hip_cuid_b7ba18e62918843e, 1

	.ident	"AMD clang version 22.0.0git (https://github.com/RadeonOpenCompute/llvm-project roc-7.2.4 26084 f58b06dce1f9c15707c5f808fd002e18c2accf7e)"
	.section	".note.GNU-stack","",@progbits
	.addrsig
	.addrsig_sym __hip_cuid_b7ba18e62918843e
	.amdgpu_metadata
---
amdhsa.kernels:
  - .args:
      - .offset:         0
        .size:           4
        .value_kind:     by_value
      - .offset:         4
        .size:           4
        .value_kind:     by_value
      - .actual_access:  read_only
        .address_space:  global
        .offset:         8
        .size:           8
        .value_kind:     global_buffer
      - .actual_access:  read_only
        .address_space:  global
        .offset:         16
        .size:           8
        .value_kind:     global_buffer
      - .actual_access:  read_only
        .address_space:  global
        .offset:         24
        .size:           8
        .value_kind:     global_buffer
      - .actual_access:  read_only
        .address_space:  global
        .offset:         32
        .size:           8
        .value_kind:     global_buffer
      - .address_space:  global
        .offset:         40
        .size:           8
        .value_kind:     global_buffer
      - .address_space:  global
        .offset:         48
        .size:           8
        .value_kind:     global_buffer
      - .address_space:  global
        .offset:         56
        .size:           8
        .value_kind:     global_buffer
      - .offset:         64
        .size:           4
        .value_kind:     by_value
      - .offset:         68
        .size:           4
        .value_kind:     by_value
      - .offset:         72
        .size:           4
        .value_kind:     by_value
      - .offset:         80
        .size:           4
        .value_kind:     hidden_block_count_x
      - .offset:         84
        .size:           4
        .value_kind:     hidden_block_count_y
      - .offset:         88
        .size:           4
        .value_kind:     hidden_block_count_z
      - .offset:         92
        .size:           2
        .value_kind:     hidden_group_size_x
      - .offset:         94
        .size:           2
        .value_kind:     hidden_group_size_y
      - .offset:         96
        .size:           2
        .value_kind:     hidden_group_size_z
      - .offset:         98
        .size:           2
        .value_kind:     hidden_remainder_x
      - .offset:         100
        .size:           2
        .value_kind:     hidden_remainder_y
      - .offset:         102
        .size:           2
        .value_kind:     hidden_remainder_z
      - .offset:         120
        .size:           8
        .value_kind:     hidden_global_offset_x
      - .offset:         128
        .size:           8
        .value_kind:     hidden_global_offset_y
      - .offset:         136
        .size:           8
        .value_kind:     hidden_global_offset_z
      - .offset:         144
        .size:           2
        .value_kind:     hidden_grid_dims
    .group_segment_fixed_size: 0
    .kernarg_segment_align: 8
    .kernarg_segment_size: 336
    .language:       OpenCL C
    .language_version:
      - 2
      - 0
    .max_flat_workgroup_size: 1024
    .name:           _Z13haccmk_kerneliiPKfS0_S0_S0_PfS1_S1_fff
    .private_segment_fixed_size: 0
    .sgpr_count:     30
    .sgpr_spill_count: 0
    .symbol:         _Z13haccmk_kerneliiPKfS0_S0_S0_PfS1_S1_fff.kd
    .uniform_work_group_size: 1
    .uses_dynamic_stack: false
    .vgpr_count:     23
    .vgpr_spill_count: 0
    .wavefront_size: 64
amdhsa.target:   amdgcn-amd-amdhsa--gfx906
amdhsa.version:
  - 1
  - 2
...

	.end_amdgpu_metadata
